;; amdgpu-corpus repo=ROCm/rocFFT kind=compiled arch=gfx906 opt=O3
	.text
	.amdgcn_target "amdgcn-amd-amdhsa--gfx906"
	.amdhsa_code_object_version 6
	.protected	fft_rtc_back_len125_factors_5_5_5_wgs_250_tpt_25_dim3_dp_ip_CI_sbcc_twdbase5_3step_dirReg_intrinsicReadWrite ; -- Begin function fft_rtc_back_len125_factors_5_5_5_wgs_250_tpt_25_dim3_dp_ip_CI_sbcc_twdbase5_3step_dirReg_intrinsicReadWrite
	.globl	fft_rtc_back_len125_factors_5_5_5_wgs_250_tpt_25_dim3_dp_ip_CI_sbcc_twdbase5_3step_dirReg_intrinsicReadWrite
	.p2align	8
	.type	fft_rtc_back_len125_factors_5_5_5_wgs_250_tpt_25_dim3_dp_ip_CI_sbcc_twdbase5_3step_dirReg_intrinsicReadWrite,@function
fft_rtc_back_len125_factors_5_5_5_wgs_250_tpt_25_dim3_dp_ip_CI_sbcc_twdbase5_3step_dirReg_intrinsicReadWrite: ; @fft_rtc_back_len125_factors_5_5_5_wgs_250_tpt_25_dim3_dp_ip_CI_sbcc_twdbase5_3step_dirReg_intrinsicReadWrite
; %bb.0:
	s_load_dwordx4 s[0:3], s[4:5], 0x10
	s_movk_i32 s7, 0x60
	v_cmp_gt_u32_e32 vcc, s7, v0
	s_and_saveexec_b64 s[8:9], vcc
	s_cbranch_execz .LBB0_2
; %bb.1:
	s_load_dwordx2 s[10:11], s[4:5], 0x8
	v_lshlrev_b32_e32 v5, 4, v0
	s_waitcnt lgkmcnt(0)
	global_load_dwordx4 v[1:4], v5, s[10:11]
	v_add_u32_e32 v5, 0, v5
	v_add_u32_e32 v5, 0x4e20, v5
	s_waitcnt vmcnt(0)
	ds_write2_b64 v5, v[1:2], v[3:4] offset1:1
.LBB0_2:
	s_or_b64 exec, exec, s[8:9]
	s_waitcnt lgkmcnt(0)
	s_load_dwordx2 s[10:11], s[0:1], 0x8
	s_mov_b32 s7, 0
	s_mov_b64 s[20:21], 0
	s_waitcnt lgkmcnt(0)
	s_add_u32 s8, s10, -1
	s_addc_u32 s9, s11, -1
	s_add_u32 s12, 0, 0x99986000
	s_addc_u32 s13, 0, 0x59
	s_mul_hi_u32 s15, s12, -10
	s_add_i32 s13, s13, 0x19999940
	s_sub_i32 s15, s15, s12
	s_mul_i32 s18, s13, -10
	s_mul_i32 s14, s12, -10
	s_add_i32 s15, s15, s18
	s_mul_hi_u32 s16, s13, s14
	s_mul_i32 s17, s13, s14
	s_mul_i32 s19, s12, s15
	s_mul_hi_u32 s14, s12, s14
	s_mul_hi_u32 s18, s12, s15
	s_add_u32 s14, s14, s19
	s_addc_u32 s18, 0, s18
	s_add_u32 s14, s14, s17
	s_mul_hi_u32 s19, s13, s15
	s_addc_u32 s14, s18, s16
	s_addc_u32 s16, s19, 0
	s_mul_i32 s15, s13, s15
	s_add_u32 s14, s14, s15
	v_mov_b32_e32 v1, s14
	s_addc_u32 s15, 0, s16
	v_add_co_u32_e32 v1, vcc, s12, v1
	s_cmp_lg_u64 vcc, 0
	s_addc_u32 s12, s13, s15
	v_readfirstlane_b32 s15, v1
	s_mul_i32 s14, s8, s12
	s_mul_hi_u32 s16, s8, s15
	s_mul_hi_u32 s13, s8, s12
	s_add_u32 s14, s16, s14
	s_addc_u32 s13, 0, s13
	s_mul_hi_u32 s17, s9, s15
	s_mul_i32 s15, s9, s15
	s_add_u32 s14, s14, s15
	s_mul_hi_u32 s16, s9, s12
	s_addc_u32 s13, s13, s17
	s_addc_u32 s14, s16, 0
	s_mul_i32 s12, s9, s12
	s_add_u32 s12, s13, s12
	s_addc_u32 s13, 0, s14
	s_add_u32 s14, s12, 1
	s_addc_u32 s15, s13, 0
	s_add_u32 s16, s12, 2
	s_mul_i32 s18, s13, 10
	s_mul_hi_u32 s19, s12, 10
	s_addc_u32 s17, s13, 0
	s_add_i32 s19, s19, s18
	s_mul_i32 s18, s12, 10
	v_mov_b32_e32 v1, s18
	v_sub_co_u32_e32 v1, vcc, s8, v1
	s_cmp_lg_u64 vcc, 0
	s_subb_u32 s8, s9, s19
	v_subrev_co_u32_e32 v2, vcc, 10, v1
	s_cmp_lg_u64 vcc, 0
	s_subb_u32 s9, s8, 0
	v_readfirstlane_b32 s18, v2
	s_cmp_gt_u32 s18, 9
	s_cselect_b32 s18, -1, 0
	s_cmp_eq_u32 s9, 0
	s_cselect_b32 s9, s18, -1
	s_cmp_lg_u32 s9, 0
	s_cselect_b32 s9, s16, s14
	s_cselect_b32 s14, s17, s15
	v_readfirstlane_b32 s15, v1
	s_cmp_gt_u32 s15, 9
	s_cselect_b32 s15, -1, 0
	s_cmp_eq_u32 s8, 0
	s_cselect_b32 s8, s15, -1
	s_cmp_lg_u32 s8, 0
	s_cselect_b32 s9, s9, s12
	s_cselect_b32 s8, s14, s13
	s_add_u32 s18, s9, 1
	s_addc_u32 s19, s8, 0
	v_mov_b32_e32 v1, s18
	v_mov_b32_e32 v2, s19
	v_cmp_lt_u64_e32 vcc, s[6:7], v[1:2]
	s_cbranch_vccnz .LBB0_4
; %bb.3:
	v_cvt_f32_u32_e32 v1, s18
	s_sub_i32 s8, 0, s18
	s_mov_b32 s21, s7
	v_rcp_iflag_f32_e32 v1, v1
	v_mul_f32_e32 v1, 0x4f7ffffe, v1
	v_cvt_u32_f32_e32 v1, v1
	v_readfirstlane_b32 s9, v1
	s_mul_i32 s8, s8, s9
	s_mul_hi_u32 s8, s9, s8
	s_add_i32 s9, s9, s8
	s_mul_hi_u32 s8, s6, s9
	s_mul_i32 s12, s8, s18
	s_sub_i32 s12, s6, s12
	s_add_i32 s9, s8, 1
	s_sub_i32 s13, s12, s18
	s_cmp_ge_u32 s12, s18
	s_cselect_b32 s8, s9, s8
	s_cselect_b32 s12, s13, s12
	s_add_i32 s9, s8, 1
	s_cmp_ge_u32 s12, s18
	s_cselect_b32 s20, s9, s8
.LBB0_4:
	s_load_dwordx2 s[22:23], s[0:1], 0x10
	s_load_dwordx2 s[8:9], s[4:5], 0x50
	;; [unrolled: 1-line block ×3, first 2 shown]
	s_load_dwordx4 s[12:15], s[2:3], 0x0
	s_mov_b64 s[0:1], s[20:21]
	s_waitcnt lgkmcnt(0)
	v_mov_b32_e32 v1, s22
	v_mov_b32_e32 v2, s23
	v_cmp_lt_u64_e32 vcc, s[20:21], v[1:2]
	s_cbranch_vccnz .LBB0_6
; %bb.5:
	v_cvt_f32_u32_e32 v1, s22
	s_sub_i32 s0, 0, s22
	v_rcp_iflag_f32_e32 v1, v1
	v_mul_f32_e32 v1, 0x4f7ffffe, v1
	v_cvt_u32_f32_e32 v1, v1
	v_readfirstlane_b32 s1, v1
	s_mul_i32 s0, s0, s1
	s_mul_hi_u32 s0, s1, s0
	s_add_i32 s1, s1, s0
	s_mul_hi_u32 s0, s20, s1
	s_mul_i32 s0, s0, s22
	s_sub_i32 s0, s20, s0
	s_sub_i32 s1, s0, s22
	s_cmp_ge_u32 s0, s22
	s_cselect_b32 s0, s1, s0
	s_sub_i32 s1, s0, s22
	s_cmp_ge_u32 s0, s22
	s_cselect_b32 s0, s1, s0
.LBB0_6:
	s_mul_i32 s1, s22, s19
	s_mul_hi_u32 s4, s22, s18
	s_add_i32 s1, s4, s1
	s_mul_i32 s4, s23, s18
	s_mul_i32 s24, s22, s18
	s_add_i32 s25, s1, s4
	s_load_dwordx2 s[22:23], s[2:3], 0x10
	v_mov_b32_e32 v1, s24
	v_mov_b32_e32 v2, s25
	v_cmp_lt_u64_e32 vcc, s[6:7], v[1:2]
	s_mov_b64 s[4:5], 0
	s_cbranch_vccnz .LBB0_8
; %bb.7:
	v_cvt_f32_u32_e32 v1, s24
	s_sub_i32 s1, 0, s24
	v_rcp_iflag_f32_e32 v1, v1
	v_mul_f32_e32 v1, 0x4f7ffffe, v1
	v_cvt_u32_f32_e32 v1, v1
	v_readfirstlane_b32 s4, v1
	s_mul_i32 s1, s1, s4
	s_mul_hi_u32 s1, s4, s1
	s_add_i32 s4, s4, s1
	s_mul_hi_u32 s1, s6, s4
	s_mul_i32 s5, s1, s24
	s_sub_i32 s5, s6, s5
	s_add_i32 s4, s1, 1
	s_sub_i32 s7, s5, s24
	s_cmp_ge_u32 s5, s24
	s_cselect_b32 s1, s4, s1
	s_cselect_b32 s5, s7, s5
	s_add_i32 s4, s1, 1
	s_cmp_ge_u32 s5, s24
	s_cselect_b32 s4, s4, s1
.LBB0_8:
	s_mul_i32 s1, s20, s19
	s_mul_hi_u32 s5, s20, s18
	s_add_i32 s5, s5, s1
	s_mul_i32 s1, s20, s18
	s_load_dword s2, s[2:3], 0x18
	s_sub_u32 s1, s6, s1
	s_subb_u32 s5, 0, s5
	v_mul_u32_u24_e32 v1, 0x199a, v0
	s_mul_i32 s5, s5, 10
	s_mul_hi_u32 s6, s1, 10
	s_mul_i32 s1, s1, 10
	v_lshrrev_b32_e32 v1, 16, v1
	s_add_i32 s5, s6, s5
	s_mul_i32 s6, s14, s1
	s_waitcnt lgkmcnt(0)
	s_mul_i32 s0, s22, s0
	v_mul_lo_u16_e32 v2, 10, v1
	s_add_i32 s0, s0, s6
	s_mul_i32 s2, s2, s4
	v_sub_u16_e32 v2, v0, v2
	s_add_i32 s2, s2, s0
	v_add_co_u32_e32 v5, vcc, s1, v2
	v_mov_b32_e32 v3, s5
	v_addc_co_u32_e32 v6, vcc, 0, v3, vcc
	s_add_u32 s0, s1, 10
	v_mov_b32_e32 v3, s10
	s_addc_u32 s1, s5, 0
	v_mov_b32_e32 v4, s11
	v_cmp_le_u64_e32 vcc, s[0:1], v[3:4]
	v_mul_lo_u32 v23, s14, v2
	v_mul_lo_u32 v3, s12, v1
	v_cmp_gt_u64_e64 s[0:1], s[10:11], v[5:6]
	s_lshl_b32 s13, s2, 4
	s_or_b64 vcc, vcc, s[0:1]
	v_add_lshl_u32 v3, v23, v3, 4
	v_cndmask_b32_e32 v3, -1, v3, vcc
	s_mov_b32 s11, 0x20000
	s_mov_b32 s10, -2
	buffer_load_dwordx4 v[6:9], v3, s[8:11], s13 offen
	v_add_u32_e32 v3, 25, v1
	v_mul_lo_u32 v3, s12, v3
	s_mov_b32 s2, 0x134454ff
	s_mov_b32 s3, 0xbfee6f0e
	s_mov_b32 s7, 0x3fee6f0e
	v_add_lshl_u32 v3, v23, v3, 4
	v_cndmask_b32_e32 v3, -1, v3, vcc
	buffer_load_dwordx4 v[10:13], v3, s[8:11], s13 offen
	v_add_u32_e32 v3, 50, v1
	v_mul_lo_u32 v3, s12, v3
	s_mov_b32 s6, s2
	s_mov_b32 s0, 0x4755a5e
	s_mov_b32 s1, 0xbfe2cf23
	v_add_lshl_u32 v3, v23, v3, 4
	v_cndmask_b32_e32 v3, -1, v3, vcc
	;; [unrolled: 8-line block ×3, first 2 shown]
	buffer_load_dwordx4 v[18:21], v3, s[8:11], s13 offen
	v_add_u32_e32 v3, 0x64, v1
	v_mul_lo_u32 v3, s12, v3
	s_mov_b32 s5, 0x3fd3c6ef
	v_lshlrev_b32_e32 v2, 4, v2
	s_movk_i32 s18, 0xfd80
	v_add_lshl_u32 v3, v23, v3, 4
	v_cndmask_b32_e32 v3, -1, v3, vcc
	buffer_load_dwordx4 v[24:27], v3, s[8:11], s13 offen
	s_waitcnt vmcnt(3)
	v_add_f64 v[3:4], v[6:7], v[10:11]
	s_waitcnt vmcnt(2)
	v_add_f64 v[3:4], v[3:4], v[14:15]
	v_add_f64 v[36:37], v[10:11], -v[14:15]
	s_waitcnt vmcnt(1)
	v_add_f64 v[3:4], v[3:4], v[18:19]
	v_add_f64 v[34:35], v[16:17], -v[20:21]
	s_waitcnt vmcnt(0)
	v_add_f64 v[28:29], v[3:4], v[24:25]
	v_add_f64 v[3:4], v[14:15], v[18:19]
	v_add_f64 v[30:31], v[12:13], -v[26:27]
	v_add_f64 v[38:39], v[24:25], -v[18:19]
	;; [unrolled: 1-line block ×3, first 2 shown]
	v_fma_f64 v[3:4], v[3:4], -0.5, v[6:7]
	v_add_f64 v[36:37], v[36:37], v[38:39]
	v_add_f64 v[38:39], v[14:15], -v[10:11]
	v_add_f64 v[14:15], v[14:15], -v[18:19]
	v_fma_f64 v[32:33], v[30:31], s[2:3], v[3:4]
	v_fma_f64 v[3:4], v[30:31], s[6:7], v[3:4]
	v_add_f64 v[38:39], v[38:39], v[40:41]
	v_fma_f64 v[32:33], v[34:35], s[0:1], v[32:33]
	v_fma_f64 v[3:4], v[34:35], s[14:15], v[3:4]
	v_fma_f64 v[32:33], v[36:37], s[4:5], v[32:33]
	v_fma_f64 v[36:37], v[36:37], s[4:5], v[3:4]
	v_add_f64 v[3:4], v[10:11], v[24:25]
	v_add_f64 v[10:11], v[10:11], -v[24:25]
	v_fma_f64 v[3:4], v[3:4], -0.5, v[6:7]
	v_fma_f64 v[6:7], v[34:35], s[6:7], v[3:4]
	v_fma_f64 v[3:4], v[34:35], s[2:3], v[3:4]
	v_add_f64 v[34:35], v[26:27], -v[20:21]
	v_fma_f64 v[6:7], v[30:31], s[0:1], v[6:7]
	v_fma_f64 v[3:4], v[30:31], s[14:15], v[3:4]
	;; [unrolled: 1-line block ×4, first 2 shown]
	v_add_f64 v[3:4], v[8:9], v[12:13]
	v_add_f64 v[3:4], v[3:4], v[16:17]
	;; [unrolled: 1-line block ×5, first 2 shown]
	v_fma_f64 v[3:4], v[3:4], -0.5, v[8:9]
	v_fma_f64 v[24:25], v[10:11], s[6:7], v[3:4]
	v_fma_f64 v[3:4], v[10:11], s[2:3], v[3:4]
	;; [unrolled: 1-line block ×3, first 2 shown]
	v_add_f64 v[24:25], v[12:13], -v[16:17]
	v_fma_f64 v[3:4], v[14:15], s[0:1], v[3:4]
	v_add_f64 v[24:25], v[24:25], v[34:35]
	v_fma_f64 v[38:39], v[24:25], s[4:5], v[3:4]
	v_add_f64 v[3:4], v[12:13], v[26:27]
	v_add_f64 v[12:13], v[16:17], -v[12:13]
	v_add_f64 v[16:17], v[20:21], -v[26:27]
	v_fma_f64 v[34:35], v[24:25], s[4:5], v[18:19]
	v_fma_f64 v[3:4], v[3:4], -0.5, v[8:9]
	v_add_f64 v[12:13], v[12:13], v[16:17]
	v_fma_f64 v[8:9], v[14:15], s[2:3], v[3:4]
	v_fma_f64 v[3:4], v[14:15], s[6:7], v[3:4]
	;; [unrolled: 1-line block ×6, first 2 shown]
	v_mul_u32_u24_e32 v3, 0x320, v1
	v_add3_u32 v3, 0, v3, v2
	ds_write_b128 v3, v[28:31]
	ds_write_b128 v3, v[32:35] offset:160
	ds_write_b128 v3, v[6:9] offset:320
	;; [unrolled: 1-line block ×4, first 2 shown]
	v_mad_i32_i24 v44, v1, s18, v3
	v_mul_lo_u16_e32 v3, 52, v1
	v_mov_b32_e32 v4, 5
	v_mul_lo_u16_sdwa v3, v3, v4 dst_sel:DWORD dst_unused:UNUSED_PAD src0_sel:BYTE_1 src1_sel:DWORD
	v_sub_u16_e32 v22, v1, v3
	v_mov_b32_e32 v3, 6
	v_lshlrev_b32_sdwa v3, v3, v22 dst_sel:DWORD dst_unused:UNUSED_PAD src0_sel:DWORD src1_sel:BYTE_0
	s_waitcnt lgkmcnt(0)
	s_barrier
	ds_read_b128 v[6:9], v44
	ds_read_b128 v[10:13], v44 offset:4000
	ds_read_b128 v[14:17], v44 offset:8000
	;; [unrolled: 1-line block ×4, first 2 shown]
	global_load_dwordx4 v[28:31], v3, s[16:17] offset:48
	global_load_dwordx4 v[32:35], v3, s[16:17] offset:32
	;; [unrolled: 1-line block ×3, first 2 shown]
	global_load_dwordx4 v[40:43], v3, s[16:17]
	s_waitcnt vmcnt(0) lgkmcnt(0)
	s_barrier
	v_mul_f64 v[3:4], v[12:13], v[42:43]
	v_fma_f64 v[3:4], v[10:11], v[40:41], v[3:4]
	v_mul_f64 v[10:11], v[10:11], v[42:43]
	v_fma_f64 v[40:41], v[12:13], v[40:41], -v[10:11]
	v_mul_f64 v[10:11], v[16:17], v[38:39]
	v_fma_f64 v[42:43], v[14:15], v[36:37], v[10:11]
	v_mul_f64 v[10:11], v[14:15], v[38:39]
	v_fma_f64 v[36:37], v[16:17], v[36:37], -v[10:11]
	v_mul_f64 v[10:11], v[20:21], v[34:35]
	v_fma_f64 v[16:17], v[18:19], v[32:33], v[10:11]
	v_mul_f64 v[10:11], v[18:19], v[34:35]
	v_add_f64 v[18:19], v[3:4], -v[42:43]
	v_add_f64 v[12:13], v[42:43], v[16:17]
	v_fma_f64 v[32:33], v[20:21], v[32:33], -v[10:11]
	v_mul_f64 v[10:11], v[26:27], v[30:31]
	v_fma_f64 v[12:13], v[12:13], -0.5, v[6:7]
	v_fma_f64 v[20:21], v[24:25], v[28:29], v[10:11]
	v_mul_f64 v[10:11], v[24:25], v[30:31]
	v_add_f64 v[30:31], v[20:21], -v[16:17]
	v_fma_f64 v[26:27], v[26:27], v[28:29], -v[10:11]
	v_add_f64 v[28:29], v[36:37], -v[32:33]
	v_add_f64 v[10:11], v[6:7], v[3:4]
	v_add_f64 v[34:35], v[16:17], -v[20:21]
	v_add_f64 v[18:19], v[18:19], v[30:31]
	v_add_f64 v[24:25], v[40:41], -v[26:27]
	v_add_f64 v[30:31], v[42:43], -v[3:4]
	v_add_f64 v[10:11], v[10:11], v[42:43]
	v_fma_f64 v[14:15], v[24:25], s[2:3], v[12:13]
	v_fma_f64 v[12:13], v[24:25], s[6:7], v[12:13]
	v_add_f64 v[10:11], v[10:11], v[16:17]
	v_add_f64 v[30:31], v[30:31], v[34:35]
	v_add_f64 v[34:35], v[26:27], -v[32:33]
	v_fma_f64 v[14:15], v[28:29], s[0:1], v[14:15]
	v_fma_f64 v[12:13], v[28:29], s[14:15], v[12:13]
	v_add_f64 v[10:11], v[10:11], v[20:21]
	v_fma_f64 v[14:15], v[18:19], s[4:5], v[14:15]
	v_fma_f64 v[18:19], v[18:19], s[4:5], v[12:13]
	v_add_f64 v[12:13], v[3:4], v[20:21]
	v_add_f64 v[3:4], v[3:4], -v[20:21]
	v_fma_f64 v[12:13], v[12:13], -0.5, v[6:7]
	v_fma_f64 v[6:7], v[28:29], s[6:7], v[12:13]
	v_fma_f64 v[12:13], v[28:29], s[2:3], v[12:13]
	v_add_f64 v[28:29], v[36:37], v[32:33]
	v_fma_f64 v[6:7], v[24:25], s[0:1], v[6:7]
	v_fma_f64 v[12:13], v[24:25], s[14:15], v[12:13]
	v_fma_f64 v[28:29], v[28:29], -0.5, v[8:9]
	v_fma_f64 v[6:7], v[30:31], s[4:5], v[6:7]
	v_fma_f64 v[24:25], v[30:31], s[4:5], v[12:13]
	;; [unrolled: 1-line block ×3, first 2 shown]
	v_add_f64 v[30:31], v[42:43], -v[16:17]
	v_fma_f64 v[28:29], v[3:4], s[2:3], v[28:29]
	v_add_f64 v[12:13], v[8:9], v[40:41]
	v_fma_f64 v[16:17], v[30:31], s[14:15], v[20:21]
	v_add_f64 v[20:21], v[40:41], -v[36:37]
	v_fma_f64 v[28:29], v[30:31], s[0:1], v[28:29]
	v_add_f64 v[12:13], v[12:13], v[36:37]
	v_add_f64 v[20:21], v[20:21], v[34:35]
	v_add_f64 v[34:35], v[36:37], -v[40:41]
	v_add_f64 v[12:13], v[12:13], v[32:33]
	v_fma_f64 v[16:17], v[20:21], s[4:5], v[16:17]
	v_fma_f64 v[20:21], v[20:21], s[4:5], v[28:29]
	v_add_f64 v[28:29], v[40:41], v[26:27]
	v_add_f64 v[12:13], v[12:13], v[26:27]
	v_add_f64 v[26:27], v[32:33], -v[26:27]
	v_fma_f64 v[28:29], v[28:29], -0.5, v[8:9]
	v_add_f64 v[26:27], v[34:35], v[26:27]
	v_fma_f64 v[8:9], v[30:31], s[2:3], v[28:29]
	v_fma_f64 v[28:29], v[30:31], s[6:7], v[28:29]
	;; [unrolled: 1-line block ×6, first 2 shown]
	v_mul_u32_u24_e32 v3, 0x51f, v0
	v_mov_b32_e32 v4, 25
	v_mul_lo_u16_sdwa v3, v3, v4 dst_sel:DWORD dst_unused:UNUSED_PAD src0_sel:WORD_1 src1_sel:DWORD
	v_add_u32_sdwa v3, v3, v22 dst_sel:DWORD dst_unused:UNUSED_PAD src0_sel:DWORD src1_sel:BYTE_0
	v_mul_u32_u24_e32 v3, 0xa0, v3
	v_add3_u32 v2, 0, v3, v2
	ds_write_b128 v2, v[10:13]
	ds_write_b128 v2, v[14:17] offset:800
	ds_write_b128 v2, v[6:9] offset:1600
	;; [unrolled: 1-line block ×4, first 2 shown]
	v_mul_lo_u16_e32 v2, 21, v1
	v_lshrrev_b16_e32 v2, 9, v2
	v_mul_lo_u16_e32 v2, 25, v2
	v_sub_u16_e32 v1, v1, v2
	v_and_b32_e32 v24, 0xff, v1
	v_lshlrev_b32_e32 v10, 6, v24
	s_waitcnt lgkmcnt(0)
	s_barrier
	ds_read_b128 v[11:14], v44
	ds_read_b128 v[6:9], v44 offset:4000
	ds_read_b128 v[15:18], v44 offset:8000
	;; [unrolled: 1-line block ×4, first 2 shown]
	global_load_dwordx4 v[1:4], v10, s[16:17] offset:368
	global_load_dwordx4 v[29:32], v10, s[16:17] offset:352
	;; [unrolled: 1-line block ×4, first 2 shown]
	v_mul_u32_u24_e32 v0, 0x107, v0
	s_waitcnt vmcnt(0) lgkmcnt(3)
	v_mul_f64 v[41:42], v[8:9], v[39:40]
	v_fma_f64 v[41:42], v[6:7], v[37:38], v[41:42]
	v_mul_f64 v[6:7], v[6:7], v[39:40]
	v_fma_f64 v[37:38], v[8:9], v[37:38], -v[6:7]
	s_waitcnt lgkmcnt(2)
	v_mul_f64 v[6:7], v[17:18], v[35:36]
	v_fma_f64 v[9:10], v[15:16], v[33:34], v[6:7]
	v_mul_f64 v[6:7], v[15:16], v[35:36]
	v_fma_f64 v[33:34], v[17:18], v[33:34], -v[6:7]
	s_waitcnt lgkmcnt(1)
	v_mul_f64 v[6:7], v[21:22], v[31:32]
	v_add_f64 v[17:18], v[41:42], -v[9:10]
	v_fma_f64 v[35:36], v[19:20], v[29:30], v[6:7]
	v_mul_f64 v[6:7], v[19:20], v[31:32]
	v_fma_f64 v[21:22], v[21:22], v[29:30], -v[6:7]
	s_waitcnt lgkmcnt(0)
	v_mul_f64 v[6:7], v[27:28], v[3:4]
	v_mul_f64 v[3:4], v[25:26], v[3:4]
	v_fma_f64 v[19:20], v[25:26], v[1:2], v[6:7]
	v_fma_f64 v[1:2], v[27:28], v[1:2], -v[3:4]
	v_add_f64 v[3:4], v[11:12], v[41:42]
	v_add_f64 v[25:26], v[33:34], -v[21:22]
	v_add_f64 v[27:28], v[19:20], -v[35:36]
	;; [unrolled: 1-line block ×3, first 2 shown]
	v_add_f64 v[3:4], v[3:4], v[9:10]
	v_add_f64 v[31:32], v[35:36], -v[19:20]
	v_add_f64 v[17:18], v[17:18], v[27:28]
	v_add_f64 v[27:28], v[9:10], -v[41:42]
	v_add_f64 v[3:4], v[3:4], v[35:36]
	v_add_f64 v[27:28], v[27:28], v[31:32]
	;; [unrolled: 1-line block ×4, first 2 shown]
	v_fma_f64 v[3:4], v[3:4], -0.5, v[11:12]
	v_fma_f64 v[6:7], v[15:16], s[2:3], v[3:4]
	v_fma_f64 v[3:4], v[15:16], s[6:7], v[3:4]
	;; [unrolled: 1-line block ×6, first 2 shown]
	v_add_f64 v[3:4], v[41:42], v[19:20]
	v_mul_lo_u32 v6, v24, v5
	v_fma_f64 v[3:4], v[3:4], -0.5, v[11:12]
	v_fma_f64 v[11:12], v[25:26], s[6:7], v[3:4]
	v_fma_f64 v[3:4], v[25:26], s[2:3], v[3:4]
	v_add_f64 v[25:26], v[41:42], -v[19:20]
	v_fma_f64 v[11:12], v[15:16], s[0:1], v[11:12]
	v_fma_f64 v[3:4], v[15:16], s[14:15], v[3:4]
	;; [unrolled: 1-line block ×4, first 2 shown]
	v_add_f64 v[3:4], v[13:14], v[37:38]
	v_add_f64 v[27:28], v[9:10], -v[35:36]
	v_add_f64 v[35:36], v[1:2], -v[21:22]
	v_add_f64 v[3:4], v[3:4], v[33:34]
	v_add_f64 v[3:4], v[3:4], v[21:22]
	;; [unrolled: 1-line block ×4, first 2 shown]
	v_fma_f64 v[3:4], v[3:4], -0.5, v[13:14]
	v_fma_f64 v[19:20], v[25:26], s[6:7], v[3:4]
	v_fma_f64 v[3:4], v[25:26], s[2:3], v[3:4]
	;; [unrolled: 1-line block ×3, first 2 shown]
	v_add_f64 v[19:20], v[37:38], -v[33:34]
	v_fma_f64 v[3:4], v[27:28], s[0:1], v[3:4]
	v_add_f64 v[33:34], v[33:34], -v[37:38]
	v_add_f64 v[19:20], v[19:20], v[35:36]
	v_fma_f64 v[9:10], v[19:20], s[4:5], v[9:10]
	v_fma_f64 v[19:20], v[19:20], s[4:5], v[3:4]
	v_add_f64 v[3:4], v[37:38], v[1:2]
	v_add_f64 v[1:2], v[21:22], -v[1:2]
	v_fma_f64 v[3:4], v[3:4], -0.5, v[13:14]
	v_add_f64 v[1:2], v[33:34], v[1:2]
	v_fma_f64 v[13:14], v[27:28], s[2:3], v[3:4]
	v_fma_f64 v[3:4], v[27:28], s[6:7], v[3:4]
	;; [unrolled: 1-line block ×4, first 2 shown]
	v_lshrrev_b32_e32 v25, 1, v6
	v_and_b32_e32 v25, 0x1f0, v25
	s_add_i32 s0, 0, 0x4e20
	v_add_u32_e32 v25, s0, v25
	ds_read_b128 v[25:28], v25 offset:512
	v_fma_f64 v[13:14], v[1:2], s[4:5], v[13:14]
	v_fma_f64 v[21:22], v[1:2], s[4:5], v[3:4]
	v_and_b32_e32 v1, 31, v6
	v_lshl_add_u32 v1, v1, 4, 0
	ds_read_b128 v[1:4], v1 offset:20000
	s_waitcnt lgkmcnt(0)
	v_mul_f64 v[33:34], v[3:4], v[27:28]
	v_fma_f64 v[33:34], v[1:2], v[25:26], -v[33:34]
	v_mul_f64 v[1:2], v[1:2], v[27:28]
	v_fma_f64 v[25:26], v[3:4], v[25:26], v[1:2]
	v_lshrrev_b32_e32 v1, 6, v6
	v_and_b32_e32 v1, 0x1f0, v1
	v_add_u32_e32 v1, s0, v1
	ds_read_b128 v[1:4], v1 offset:1024
	s_waitcnt lgkmcnt(0)
	v_mul_f64 v[27:28], v[25:26], v[3:4]
	v_mul_f64 v[3:4], v[33:34], v[3:4]
	v_fma_f64 v[27:28], v[1:2], v[33:34], -v[27:28]
	v_fma_f64 v[3:4], v[1:2], v[25:26], v[3:4]
	v_mul_lo_u32 v33, v5, 25
	v_add_u32_e32 v34, v6, v33
	v_and_b32_e32 v5, 31, v34
	v_lshl_add_u32 v5, v5, 4, 0
	v_mul_f64 v[1:2], v[31:32], v[3:4]
	v_mul_f64 v[3:4], v[29:30], v[3:4]
	v_fma_f64 v[1:2], v[29:30], v[27:28], v[1:2]
	v_fma_f64 v[3:4], v[31:32], v[27:28], -v[3:4]
	ds_read_b128 v[25:28], v5 offset:20000
	v_lshrrev_b32_e32 v5, 1, v34
	v_and_b32_e32 v5, 0x1f0, v5
	v_add_u32_e32 v5, s0, v5
	ds_read_b128 v[29:32], v5 offset:512
	s_waitcnt lgkmcnt(0)
	v_mul_f64 v[5:6], v[27:28], v[31:32]
	v_fma_f64 v[5:6], v[25:26], v[29:30], -v[5:6]
	v_mul_f64 v[25:26], v[25:26], v[31:32]
	v_fma_f64 v[29:30], v[27:28], v[29:30], v[25:26]
	v_lshrrev_b32_e32 v25, 6, v34
	v_and_b32_e32 v25, 0x1f0, v25
	v_add_u32_e32 v25, s0, v25
	ds_read_b128 v[25:28], v25 offset:1024
	v_add_u32_e32 v34, v34, v33
	s_waitcnt lgkmcnt(0)
	v_mul_f64 v[31:32], v[29:30], v[27:28]
	v_fma_f64 v[31:32], v[25:26], v[5:6], -v[31:32]
	v_mul_f64 v[5:6], v[5:6], v[27:28]
	v_fma_f64 v[25:26], v[25:26], v[29:30], v[5:6]
	v_mul_f64 v[5:6], v[9:10], v[25:26]
	v_fma_f64 v[5:6], v[7:8], v[31:32], v[5:6]
	v_mul_f64 v[7:8], v[7:8], v[25:26]
	v_fma_f64 v[7:8], v[9:10], v[31:32], -v[7:8]
	v_and_b32_e32 v9, 31, v34
	v_lshl_add_u32 v9, v9, 4, 0
	ds_read_b128 v[25:28], v9 offset:20000
	v_lshrrev_b32_e32 v9, 1, v34
	v_and_b32_e32 v9, 0x1f0, v9
	v_add_u32_e32 v9, s0, v9
	ds_read_b128 v[29:32], v9 offset:512
	s_waitcnt lgkmcnt(0)
	v_mul_f64 v[9:10], v[27:28], v[31:32]
	v_fma_f64 v[9:10], v[25:26], v[29:30], -v[9:10]
	v_mul_f64 v[25:26], v[25:26], v[31:32]
	v_fma_f64 v[29:30], v[27:28], v[29:30], v[25:26]
	v_lshrrev_b32_e32 v25, 6, v34
	v_and_b32_e32 v25, 0x1f0, v25
	v_add_u32_e32 v25, s0, v25
	ds_read_b128 v[25:28], v25 offset:1024
	v_add_u32_e32 v34, v34, v33
	v_add_u32_e32 v33, v34, v33
	s_waitcnt lgkmcnt(0)
	v_mul_f64 v[31:32], v[29:30], v[27:28]
	v_fma_f64 v[31:32], v[25:26], v[9:10], -v[31:32]
	v_mul_f64 v[9:10], v[9:10], v[27:28]
	v_fma_f64 v[25:26], v[25:26], v[29:30], v[9:10]
	v_mul_f64 v[9:10], v[13:14], v[25:26]
	v_fma_f64 v[9:10], v[11:12], v[31:32], v[9:10]
	v_mul_f64 v[11:12], v[11:12], v[25:26]
	v_fma_f64 v[11:12], v[13:14], v[31:32], -v[11:12]
	v_and_b32_e32 v13, 31, v34
	v_lshl_add_u32 v13, v13, 4, 0
	ds_read_b128 v[25:28], v13 offset:20000
	v_lshrrev_b32_e32 v13, 1, v34
	v_and_b32_e32 v13, 0x1f0, v13
	v_add_u32_e32 v13, s0, v13
	ds_read_b128 v[29:32], v13 offset:512
	s_waitcnt lgkmcnt(0)
	v_mul_f64 v[13:14], v[27:28], v[31:32]
	v_fma_f64 v[13:14], v[25:26], v[29:30], -v[13:14]
	v_mul_f64 v[25:26], v[25:26], v[31:32]
	v_fma_f64 v[29:30], v[27:28], v[29:30], v[25:26]
	v_lshrrev_b32_e32 v25, 6, v34
	v_and_b32_e32 v25, 0x1f0, v25
	v_add_u32_e32 v25, s0, v25
	ds_read_b128 v[25:28], v25 offset:1024
	s_waitcnt lgkmcnt(0)
	v_mul_f64 v[31:32], v[29:30], v[27:28]
	v_fma_f64 v[31:32], v[25:26], v[13:14], -v[31:32]
	v_mul_f64 v[13:14], v[13:14], v[27:28]
	v_fma_f64 v[25:26], v[25:26], v[29:30], v[13:14]
	v_mul_f64 v[13:14], v[21:22], v[25:26]
	v_fma_f64 v[13:14], v[15:16], v[31:32], v[13:14]
	v_mul_f64 v[15:16], v[15:16], v[25:26]
	v_fma_f64 v[15:16], v[21:22], v[31:32], -v[15:16]
	v_and_b32_e32 v21, 31, v33
	v_lshl_add_u32 v21, v21, 4, 0
	ds_read_b128 v[25:28], v21 offset:20000
	v_lshrrev_b32_e32 v21, 1, v33
	v_and_b32_e32 v21, 0x1f0, v21
	v_add_u32_e32 v21, s0, v21
	ds_read_b128 v[29:32], v21 offset:512
	s_waitcnt lgkmcnt(0)
	v_mul_f64 v[21:22], v[27:28], v[31:32]
	v_fma_f64 v[21:22], v[25:26], v[29:30], -v[21:22]
	v_mul_f64 v[25:26], v[25:26], v[31:32]
	v_fma_f64 v[29:30], v[27:28], v[29:30], v[25:26]
	v_lshrrev_b32_e32 v25, 6, v33
	v_and_b32_e32 v25, 0x1f0, v25
	v_add_u32_e32 v25, s0, v25
	ds_read_b128 v[25:28], v25 offset:1024
	s_movk_i32 s0, 0x7d
	v_mul_lo_u16_sdwa v0, v0, s0 dst_sel:DWORD dst_unused:UNUSED_PAD src0_sel:WORD_1 src1_sel:DWORD
	v_add_u32_e32 v0, v0, v24
	s_waitcnt lgkmcnt(0)
	v_mul_f64 v[31:32], v[29:30], v[27:28]
	v_fma_f64 v[31:32], v[25:26], v[21:22], -v[31:32]
	v_mul_f64 v[21:22], v[21:22], v[27:28]
	v_fma_f64 v[21:22], v[25:26], v[29:30], v[21:22]
	v_mul_f64 v[25:26], v[19:20], v[21:22]
	v_fma_f64 v[25:26], v[17:18], v[31:32], v[25:26]
	v_mul_f64 v[17:18], v[17:18], v[21:22]
	v_fma_f64 v[27:28], v[19:20], v[31:32], -v[17:18]
	v_mul_lo_u32 v17, s12, v0
	v_add_lshl_u32 v17, v23, v17, 4
	v_cndmask_b32_e32 v17, -1, v17, vcc
	buffer_store_dwordx4 v[1:4], v17, s[8:11], s13 offen
	v_add_u32_e32 v1, 25, v0
	v_mul_lo_u32 v1, s12, v1
	v_add_lshl_u32 v1, v23, v1, 4
	v_cndmask_b32_e32 v1, -1, v1, vcc
	buffer_store_dwordx4 v[5:8], v1, s[8:11], s13 offen
	v_add_u32_e32 v1, 50, v0
	;; [unrolled: 5-line block ×3, first 2 shown]
	v_add_u32_e32 v0, 0x64, v0
	v_mul_lo_u32 v1, s12, v1
	v_mul_lo_u32 v0, s12, v0
	v_add_lshl_u32 v1, v23, v1, 4
	v_add_lshl_u32 v0, v23, v0, 4
	v_cndmask_b32_e32 v1, -1, v1, vcc
	v_cndmask_b32_e32 v0, -1, v0, vcc
	buffer_store_dwordx4 v[13:16], v1, s[8:11], s13 offen
	buffer_store_dwordx4 v[25:28], v0, s[8:11], s13 offen
	s_endpgm
	.section	.rodata,"a",@progbits
	.p2align	6, 0x0
	.amdhsa_kernel fft_rtc_back_len125_factors_5_5_5_wgs_250_tpt_25_dim3_dp_ip_CI_sbcc_twdbase5_3step_dirReg_intrinsicReadWrite
		.amdhsa_group_segment_fixed_size 0
		.amdhsa_private_segment_fixed_size 0
		.amdhsa_kernarg_size 88
		.amdhsa_user_sgpr_count 6
		.amdhsa_user_sgpr_private_segment_buffer 1
		.amdhsa_user_sgpr_dispatch_ptr 0
		.amdhsa_user_sgpr_queue_ptr 0
		.amdhsa_user_sgpr_kernarg_segment_ptr 1
		.amdhsa_user_sgpr_dispatch_id 0
		.amdhsa_user_sgpr_flat_scratch_init 0
		.amdhsa_user_sgpr_private_segment_size 0
		.amdhsa_uses_dynamic_stack 0
		.amdhsa_system_sgpr_private_segment_wavefront_offset 0
		.amdhsa_system_sgpr_workgroup_id_x 1
		.amdhsa_system_sgpr_workgroup_id_y 0
		.amdhsa_system_sgpr_workgroup_id_z 0
		.amdhsa_system_sgpr_workgroup_info 0
		.amdhsa_system_vgpr_workitem_id 0
		.amdhsa_next_free_vgpr 45
		.amdhsa_next_free_sgpr 26
		.amdhsa_reserve_vcc 1
		.amdhsa_reserve_flat_scratch 0
		.amdhsa_float_round_mode_32 0
		.amdhsa_float_round_mode_16_64 0
		.amdhsa_float_denorm_mode_32 3
		.amdhsa_float_denorm_mode_16_64 3
		.amdhsa_dx10_clamp 1
		.amdhsa_ieee_mode 1
		.amdhsa_fp16_overflow 0
		.amdhsa_exception_fp_ieee_invalid_op 0
		.amdhsa_exception_fp_denorm_src 0
		.amdhsa_exception_fp_ieee_div_zero 0
		.amdhsa_exception_fp_ieee_overflow 0
		.amdhsa_exception_fp_ieee_underflow 0
		.amdhsa_exception_fp_ieee_inexact 0
		.amdhsa_exception_int_div_zero 0
	.end_amdhsa_kernel
	.text
.Lfunc_end0:
	.size	fft_rtc_back_len125_factors_5_5_5_wgs_250_tpt_25_dim3_dp_ip_CI_sbcc_twdbase5_3step_dirReg_intrinsicReadWrite, .Lfunc_end0-fft_rtc_back_len125_factors_5_5_5_wgs_250_tpt_25_dim3_dp_ip_CI_sbcc_twdbase5_3step_dirReg_intrinsicReadWrite
                                        ; -- End function
	.section	.AMDGPU.csdata,"",@progbits
; Kernel info:
; codeLenInByte = 4292
; NumSgprs: 30
; NumVgprs: 45
; ScratchSize: 0
; MemoryBound: 0
; FloatMode: 240
; IeeeMode: 1
; LDSByteSize: 0 bytes/workgroup (compile time only)
; SGPRBlocks: 3
; VGPRBlocks: 11
; NumSGPRsForWavesPerEU: 30
; NumVGPRsForWavesPerEU: 45
; Occupancy: 5
; WaveLimiterHint : 0
; COMPUTE_PGM_RSRC2:SCRATCH_EN: 0
; COMPUTE_PGM_RSRC2:USER_SGPR: 6
; COMPUTE_PGM_RSRC2:TRAP_HANDLER: 0
; COMPUTE_PGM_RSRC2:TGID_X_EN: 1
; COMPUTE_PGM_RSRC2:TGID_Y_EN: 0
; COMPUTE_PGM_RSRC2:TGID_Z_EN: 0
; COMPUTE_PGM_RSRC2:TIDIG_COMP_CNT: 0
	.type	__hip_cuid_4cb8712fa830bbb4,@object ; @__hip_cuid_4cb8712fa830bbb4
	.section	.bss,"aw",@nobits
	.globl	__hip_cuid_4cb8712fa830bbb4
__hip_cuid_4cb8712fa830bbb4:
	.byte	0                               ; 0x0
	.size	__hip_cuid_4cb8712fa830bbb4, 1

	.ident	"AMD clang version 19.0.0git (https://github.com/RadeonOpenCompute/llvm-project roc-6.4.0 25133 c7fe45cf4b819c5991fe208aaa96edf142730f1d)"
	.section	".note.GNU-stack","",@progbits
	.addrsig
	.addrsig_sym __hip_cuid_4cb8712fa830bbb4
	.amdgpu_metadata
---
amdhsa.kernels:
  - .args:
      - .actual_access:  read_only
        .address_space:  global
        .offset:         0
        .size:           8
        .value_kind:     global_buffer
      - .address_space:  global
        .offset:         8
        .size:           8
        .value_kind:     global_buffer
      - .actual_access:  read_only
        .address_space:  global
        .offset:         16
        .size:           8
        .value_kind:     global_buffer
      - .actual_access:  read_only
        .address_space:  global
        .offset:         24
        .size:           8
        .value_kind:     global_buffer
      - .offset:         32
        .size:           8
        .value_kind:     by_value
      - .actual_access:  read_only
        .address_space:  global
        .offset:         40
        .size:           8
        .value_kind:     global_buffer
      - .actual_access:  read_only
        .address_space:  global
        .offset:         48
        .size:           8
        .value_kind:     global_buffer
      - .offset:         56
        .size:           4
        .value_kind:     by_value
      - .actual_access:  read_only
        .address_space:  global
        .offset:         64
        .size:           8
        .value_kind:     global_buffer
      - .actual_access:  read_only
        .address_space:  global
        .offset:         72
        .size:           8
        .value_kind:     global_buffer
      - .address_space:  global
        .offset:         80
        .size:           8
        .value_kind:     global_buffer
    .group_segment_fixed_size: 0
    .kernarg_segment_align: 8
    .kernarg_segment_size: 88
    .language:       OpenCL C
    .language_version:
      - 2
      - 0
    .max_flat_workgroup_size: 250
    .name:           fft_rtc_back_len125_factors_5_5_5_wgs_250_tpt_25_dim3_dp_ip_CI_sbcc_twdbase5_3step_dirReg_intrinsicReadWrite
    .private_segment_fixed_size: 0
    .sgpr_count:     30
    .sgpr_spill_count: 0
    .symbol:         fft_rtc_back_len125_factors_5_5_5_wgs_250_tpt_25_dim3_dp_ip_CI_sbcc_twdbase5_3step_dirReg_intrinsicReadWrite.kd
    .uniform_work_group_size: 1
    .uses_dynamic_stack: false
    .vgpr_count:     45
    .vgpr_spill_count: 0
    .wavefront_size: 64
amdhsa.target:   amdgcn-amd-amdhsa--gfx906
amdhsa.version:
  - 1
  - 2
...

	.end_amdgpu_metadata
